;; amdgpu-corpus repo=ROCm/rocFFT kind=compiled arch=gfx1201 opt=O3
	.text
	.amdgcn_target "amdgcn-amd-amdhsa--gfx1201"
	.amdhsa_code_object_version 6
	.protected	fft_rtc_fwd_len343_factors_7_7_7_wgs_245_tpt_49_dp_op_CI_CI_sbrc_z_xy_diag_dirReg ; -- Begin function fft_rtc_fwd_len343_factors_7_7_7_wgs_245_tpt_49_dp_op_CI_CI_sbrc_z_xy_diag_dirReg
	.globl	fft_rtc_fwd_len343_factors_7_7_7_wgs_245_tpt_49_dp_op_CI_CI_sbrc_z_xy_diag_dirReg
	.p2align	8
	.type	fft_rtc_fwd_len343_factors_7_7_7_wgs_245_tpt_49_dp_op_CI_CI_sbrc_z_xy_diag_dirReg,@function
fft_rtc_fwd_len343_factors_7_7_7_wgs_245_tpt_49_dp_op_CI_CI_sbrc_z_xy_diag_dirReg: ; @fft_rtc_fwd_len343_factors_7_7_7_wgs_245_tpt_49_dp_op_CI_CI_sbrc_z_xy_diag_dirReg
; %bb.0:
	s_clause 0x2
	s_load_b256 s[4:11], s[0:1], 0x0
	s_load_b128 s[12:15], s[0:1], 0x58
	s_load_b64 s[24:25], s[0:1], 0x20
	v_add_nc_u16 v20, v0, 0x4c9
	v_add_nc_u16 v4, v0, 0x2df
	;; [unrolled: 1-line block ×5, first 2 shown]
	v_and_b32_e32 v10, 0xffff, v20
	v_and_b32_e32 v8, 0xffff, v4
	s_delay_alu instid0(VALU_DEP_4) | instskip(NEXT) | instid1(VALU_DEP_4)
	v_dual_mov_b32 v2, 0 :: v_dual_and_b32 v7, 0xffff, v3
	v_and_b32_e32 v11, 0xffff, v21
	s_delay_alu instid0(VALU_DEP_4) | instskip(NEXT) | instid1(VALU_DEP_4)
	v_mul_u32_u24_e32 v10, 0x5f9, v10
	v_mul_u32_u24_e32 v8, 0x2fd, v8
	v_add_nc_u16 v5, v0, 0x3d4
	v_mul_u32_u24_e32 v7, 0x2fd, v7
	v_mul_u32_u24_e32 v22, 0x5f9, v11
	v_lshrrev_b32_e32 v38, 19, v10
	v_lshrrev_b32_e32 v36, 18, v8
	v_and_b32_e32 v9, 0xffff, v5
	s_wait_kmcnt 0x0
	s_load_b128 s[0:3], s[8:9], 0x8
	s_load_b128 s[16:19], s[10:11], 0x0
	v_lshrrev_b32_e32 v35, 18, v7
	v_mul_lo_u16 v8, 0x157, v36
	v_mul_u32_u24_e32 v9, 0x5f9, v9
	s_mov_b32 s21, 0
	v_lshrrev_b32_e32 v43, 19, v22
	v_mul_lo_u16 v7, 0x157, v35
	v_sub_nc_u16 v41, v4, v8
	v_lshrrev_b32_e32 v37, 19, v9
	s_mov_b32 s23, s21
	s_mov_b32 s30, 0x37e14327
	v_sub_nc_u16 v40, v3, v7
	v_and_b32_e32 v18, 0xffff, v41
	v_mul_lo_u16 v9, 0x157, v37
	s_mov_b32 s34, 0xe976ee23
	s_mov_b32 s31, 0x3fe948f6
	v_and_b32_e32 v17, 0xffff, v40
	s_mov_b32 s35, 0xbfe11646
	v_sub_nc_u16 v42, v5, v9
	s_wait_kmcnt 0x0
	s_add_co_i32 s0, s0, -1
	s_mov_b32 s26, 0xb247c609
	s_mul_hi_u32 s0, s0, 0xcccccccd
	s_mov_b32 s27, 0x3fd5d0dc
	s_lshr_b32 s0, s0, 2
	v_and_b32_e32 v23, 0xffff, v42
	s_add_co_i32 s0, s0, 1
	s_mov_b32 s29, 0xbfd5d0dc
	s_mul_i32 s0, s0, s2
	s_load_b32 s2, s[10:11], 0x10
	s_cvt_f32_u32 s1, s0
	s_sub_co_i32 s3, 0, s0
	s_mov_b32 s28, s26
	s_delay_alu instid0(SALU_CYCLE_1) | instskip(NEXT) | instid1(TRANS32_DEP_1)
	v_rcp_iflag_f32_e32 v10, s1
	v_readfirstlane_b32 s1, v10
	s_delay_alu instid0(VALU_DEP_1) | instskip(SKIP_1) | instid1(SALU_CYCLE_2)
	s_mul_f32 s1, s1, 0x4f7ffffe
	s_wait_alu 0xfffe
	s_cvt_u32_f32 s1, s1
	s_wait_alu 0xfffe
	s_delay_alu instid0(SALU_CYCLE_2) | instskip(NEXT) | instid1(SALU_CYCLE_1)
	s_mul_i32 s3, s3, s1
	s_mul_hi_u32 s3, s1, s3
	s_delay_alu instid0(SALU_CYCLE_1)
	s_add_co_i32 s1, s1, s3
	s_wait_alu 0xfffe
	s_mul_hi_u32 s1, ttmp9, s1
	s_wait_alu 0xfffe
	s_mul_i32 s3, s1, s0
	s_add_co_i32 s8, s1, 1
	s_sub_co_i32 s3, ttmp9, s3
	s_delay_alu instid0(SALU_CYCLE_1)
	s_sub_co_i32 s9, s3, s0
	s_cmp_ge_u32 s3, s0
	s_cselect_b32 s1, s8, s1
	s_cselect_b32 s3, s9, s3
	s_wait_alu 0xfffe
	s_add_co_i32 s8, s1, 1
	s_cmp_ge_u32 s3, s0
	s_cselect_b32 s22, s8, s1
	s_lshl_b64 s[6:7], s[6:7], 3
	s_mul_i32 s3, s22, s0
	s_add_nc_u64 s[0:1], s[10:11], s[6:7]
	s_wait_alu 0xfffe
	s_sub_co_i32 s3, ttmp9, s3
	s_load_b64 s[0:1], s[0:1], 0x0
	v_mad_co_u64_u32 v[14:15], null, s16, v18, 0
	v_and_b32_e32 v6, 0xffff, v1
	v_mad_co_u64_u32 v[7:8], null, s16, v17, 0
	s_mul_hi_u32 s8, s3, 0x5397829d
	v_mad_co_u64_u32 v[3:4], null, s16, v0, 0
	s_delay_alu instid0(VALU_DEP_4)
	v_mov_b32_e32 v11, v15
	v_mul_u32_u24_e32 v6, 0x17f, v6
	s_lshr_b32 s8, s8, 4
	s_add_nc_u64 s[6:7], s[24:25], s[6:7]
	s_mul_i32 s9, s8, 49
	s_mov_b32 s10, 0x36b3c0b5
	v_lshrrev_b32_e32 v34, 17, v6
	s_sub_co_i32 s36, s3, s9
	s_mov_b32 s11, 0x3fac98ee
	s_add_co_i32 s8, s8, s36
	s_mul_i32 s36, s36, 5
	v_mul_lo_u16 v6, 0x157, v34
	s_mul_hi_u32 s3, s8, 0xbf112a8b
	s_mul_i32 s9, s36, s18
	s_lshr_b32 s3, s3, 8
	s_wait_kmcnt 0x0
	s_mul_u64 s[0:1], s[0:1], s[22:23]
	v_sub_nc_u16 v39, v1, v6
	v_mul_lo_u32 v1, s18, v34
	s_mulk_i32 s3, 0x157
	s_wait_alu 0xfffe
	s_lshl_b64 s[0:1], s[0:1], 4
	s_sub_co_i32 s33, s8, s3
	v_and_b32_e32 v16, 0xffff, v39
	s_mul_i32 s2, s33, s2
	s_wait_alu 0xfffe
	s_add_nc_u64 s[0:1], s[12:13], s[0:1]
	s_add_co_i32 s20, s2, s9
	v_lshlrev_b64_e32 v[9:10], 4, v[1:2]
	v_mad_co_u64_u32 v[5:6], null, s16, v16, 0
	v_mul_lo_u32 v1, s18, v35
	s_lshl_b64 s[2:3], s[20:21], 4
	v_mad_u16 v34, v39, 5, v34
	s_wait_alu 0xfffe
	s_add_nc_u64 s[0:1], s[0:1], s[2:3]
	v_mad_u16 v35, v40, 5, v35
	s_mov_b32 s8, 0x429ad128
	v_mad_co_u64_u32 v[15:16], null, s17, v16, v[6:7]
	v_mad_co_u64_u32 v[12:13], null, s17, v0, v[4:5]
	;; [unrolled: 1-line block ×3, first 2 shown]
	v_and_b32_e32 v34, 0xffff, v34
	s_delay_alu instid0(VALU_DEP_4) | instskip(SKIP_1) | instid1(VALU_DEP_4)
	v_dual_mov_b32 v6, v15 :: v_dual_and_b32 v35, 0xffff, v35
	s_mov_b32 s9, 0x3febfeb5
	v_mov_b32_e32 v4, v12
	v_mad_co_u64_u32 v[17:18], null, s17, v18, v[11:12]
	s_delay_alu instid0(VALU_DEP_3) | instskip(SKIP_1) | instid1(VALU_DEP_4)
	v_lshlrev_b64_e32 v[5:6], 4, v[5:6]
	v_mov_b32_e32 v8, v16
	v_lshlrev_b64_e32 v[3:4], 4, v[3:4]
	v_lshlrev_b64_e32 v[18:19], 4, v[1:2]
	v_mul_lo_u16 v16, 0x157, v38
	v_lshl_add_u32 v34, v34, 4, 0
	s_wait_alu 0xfffe
	v_add_co_u32 v1, vcc_lo, s0, v5
	v_add_co_ci_u32_e32 v5, vcc_lo, s1, v6, vcc_lo
	v_add_co_u32 v3, vcc_lo, s0, v3
	v_lshlrev_b64_e32 v[7:8], 4, v[7:8]
	s_wait_alu 0xfffd
	v_add_co_ci_u32_e32 v4, vcc_lo, s1, v4, vcc_lo
	v_add_co_u32 v11, vcc_lo, v1, v9
	s_wait_alu 0xfffd
	v_add_co_ci_u32_e32 v12, vcc_lo, v5, v10, vcc_lo
	v_add_co_u32 v1, vcc_lo, s0, v7
	s_wait_alu 0xfffd
	v_add_co_ci_u32_e32 v5, vcc_lo, s1, v8, vcc_lo
	s_clause 0x1
	global_load_b128 v[6:9], v[3:4], off
	global_load_b128 v[10:13], v[11:12], off
	v_sub_nc_u16 v44, v20, v16
	v_mul_lo_u16 v20, 0x157, v43
	v_mov_b32_e32 v15, v17
	v_add_co_u32 v16, vcc_lo, v1, v18
	s_delay_alu instid0(VALU_DEP_4) | instskip(NEXT) | instid1(VALU_DEP_4)
	v_and_b32_e32 v22, 0xffff, v44
	v_sub_nc_u16 v45, v21, v20
	v_mad_co_u64_u32 v[3:4], null, s16, v23, 0
	s_wait_alu 0xfffd
	v_add_co_ci_u32_e32 v17, vcc_lo, v5, v19, vcc_lo
	s_delay_alu instid0(VALU_DEP_3) | instskip(SKIP_3) | instid1(VALU_DEP_4)
	v_and_b32_e32 v25, 0xffff, v45
	v_mad_co_u64_u32 v[18:19], null, s16, v22, 0
	v_mul_lo_u32 v1, s18, v36
	v_lshlrev_b64_e32 v[14:15], 4, v[14:15]
	v_mad_co_u64_u32 v[20:21], null, s16, v25, 0
	v_mad_co_u64_u32 v[4:5], null, s17, v23, v[4:5]
	v_mov_b32_e32 v5, v19
	s_delay_alu instid0(VALU_DEP_4)
	v_add_co_u32 v24, vcc_lo, s0, v14
	s_wait_alu 0xfffd
	v_add_co_ci_u32_e32 v26, vcc_lo, s1, v15, vcc_lo
	v_lshlrev_b64_e32 v[14:15], 4, v[1:2]
	v_mul_lo_u32 v1, s18, v37
	v_lshlrev_b64_e32 v[3:4], 4, v[3:4]
	v_mad_u16 v36, v41, 5, v36
	v_mad_u16 v37, v42, 5, v37
	;; [unrolled: 1-line block ×3, first 2 shown]
	v_lshl_add_u32 v35, v35, 4, 0
	s_mov_b32 s12, 0xaaaaaaaa
	v_and_b32_e32 v36, 0xffff, v36
	v_and_b32_e32 v37, 0xffff, v37
	;; [unrolled: 1-line block ×3, first 2 shown]
	s_mov_b32 s13, 0xbff2aaaa
	s_delay_alu instid0(VALU_DEP_3) | instskip(NEXT) | instid1(VALU_DEP_3)
	v_lshl_add_u32 v36, v36, 4, 0
	v_lshl_add_u32 v37, v37, 4, 0
	s_delay_alu instid0(VALU_DEP_3)
	v_lshl_add_u32 v39, v39, 4, 0
	s_wait_loadcnt 0x1
	v_mad_co_u64_u32 v[22:23], null, s17, v22, v[5:6]
	v_mov_b32_e32 v5, v21
	v_add_co_u32 v23, vcc_lo, v24, v14
	s_wait_alu 0xfffd
	v_add_co_ci_u32_e32 v24, vcc_lo, v26, v15, vcc_lo
	s_delay_alu instid0(VALU_DEP_3)
	v_mad_co_u64_u32 v[25:26], null, s17, v25, v[5:6]
	v_lshlrev_b64_e32 v[14:15], 4, v[1:2]
	v_mul_lo_u32 v1, s18, v38
	v_add_co_u32 v5, vcc_lo, s0, v3
	v_mov_b32_e32 v19, v22
	s_wait_alu 0xfffd
	v_add_co_ci_u32_e32 v22, vcc_lo, s1, v4, vcc_lo
	v_mov_b32_e32 v21, v25
	v_add_co_u32 v25, vcc_lo, v5, v14
	v_lshlrev_b64_e32 v[3:4], 4, v[18:19]
	s_wait_alu 0xfffd
	v_add_co_ci_u32_e32 v26, vcc_lo, v22, v15, vcc_lo
	v_lshlrev_b64_e32 v[14:15], 4, v[1:2]
	v_mul_lo_u32 v1, s18, v43
	v_lshlrev_b64_e32 v[18:19], 4, v[20:21]
	v_add_co_u32 v5, vcc_lo, s0, v3
	s_wait_alu 0xfffd
	v_add_co_ci_u32_e32 v20, vcc_lo, s1, v4, vcc_lo
	v_mad_u16 v38, v44, 5, v38
	s_delay_alu instid0(VALU_DEP_4)
	v_add_co_u32 v18, vcc_lo, s0, v18
	v_lshlrev_b64_e32 v[3:4], 4, v[1:2]
	s_wait_alu 0xfffd
	v_add_co_ci_u32_e32 v19, vcc_lo, s1, v19, vcc_lo
	v_add_co_u32 v27, vcc_lo, v5, v14
	s_wait_alu 0xfffd
	v_add_co_ci_u32_e32 v28, vcc_lo, v20, v15, vcc_lo
	v_add_co_u32 v3, vcc_lo, v18, v3
	s_wait_alu 0xfffd
	v_add_co_ci_u32_e32 v4, vcc_lo, v19, v4, vcc_lo
	s_clause 0x4
	global_load_b128 v[14:17], v[16:17], off
	global_load_b128 v[18:21], v[23:24], off
	;; [unrolled: 1-line block ×5, first 2 shown]
	v_mul_u32_u24_e32 v1, 0x3334, v0
	v_mul_lo_u16 v3, v0, 5
	v_and_b32_e32 v38, 0xffff, v38
	s_clause 0x1
	s_load_b128 s[0:3], s[24:25], 0x0
	s_load_b64 s[6:7], s[6:7], 0x0
	v_lshrrev_b32_e32 v4, 16, v1
	v_and_b32_e32 v5, 0xffff, v3
	s_wait_kmcnt 0x0
	s_load_b32 s3, s[24:25], 0x10
	v_lshl_add_u32 v38, v38, 4, 0
	s_mov_b32 s16, 0x5476071b
	v_mul_lo_u16 v1, v4, 5
	v_lshl_add_u32 v46, v5, 4, 0
	s_mov_b32 s17, 0x3fe77f67
	s_mov_b32 s25, 0xbfe77f67
	s_wait_alu 0xfffe
	s_mov_b32 s24, s16
	v_sub_nc_u16 v1, v0, v1
	s_mov_b32 s18, 0x37c3f68c
	s_mov_b32 s19, 0x3fdc38aa
	v_mul_u32_u24_e32 v0, 0x10c, v0
	ds_store_b128 v46, v[6:9]
	s_wait_loadcnt 0x5
	ds_store_b128 v34, v[10:13]
	s_wait_loadcnt 0x4
	;; [unrolled: 2-line block ×6, first 2 shown]
	ds_store_b128 v39, v[30:33]
	v_and_b32_e32 v3, 0xffff, v1
	v_mul_u32_u24_e32 v1, 0x50, v4
	global_wb scope:SCOPE_SE
	s_wait_dscnt 0x0
	s_wait_kmcnt 0x0
	s_barrier_signal -1
	s_barrier_wait -1
	v_lshlrev_b32_e32 v5, 4, v3
	global_inv scope:SCOPE_SE
	v_lshrrev_b32_e32 v0, 16, v0
	s_mul_i32 s20, s33, s2
	v_add3_u32 v1, 0, v1, v5
	ds_load_b128 v[6:9], v1 offset:3920
	ds_load_b128 v[10:13], v1 offset:23520
	ds_load_b128 v[14:17], v1 offset:19600
	ds_load_b128 v[18:21], v1 offset:7840
	ds_load_b128 v[22:25], v1 offset:11760
	ds_load_b128 v[26:29], v1 offset:15680
	v_mul_lo_u16 v0, 0x157, v0
	s_delay_alu instid0(VALU_DEP_1)
	v_and_b32_e32 v0, 0xffff, v0
	s_wait_dscnt 0x4
	v_add_f64_e32 v[30:31], v[6:7], v[10:11]
	v_add_f64_e32 v[32:33], v[8:9], v[12:13]
	s_wait_dscnt 0x2
	v_add_f64_e32 v[34:35], v[18:19], v[14:15]
	v_add_f64_e32 v[36:37], v[20:21], v[16:17]
	v_add_f64_e64 v[14:15], v[18:19], -v[14:15]
	v_add_f64_e64 v[16:17], v[20:21], -v[16:17]
	s_wait_dscnt 0x0
	v_add_f64_e32 v[18:19], v[22:23], v[26:27]
	v_add_f64_e32 v[20:21], v[24:25], v[28:29]
	v_add_f64_e64 v[22:23], v[26:27], -v[22:23]
	v_add_f64_e64 v[24:25], v[28:29], -v[24:25]
	;; [unrolled: 1-line block ×4, first 2 shown]
	v_add_f64_e32 v[6:7], v[34:35], v[30:31]
	v_add_f64_e32 v[8:9], v[36:37], v[32:33]
	v_add_f64_e64 v[26:27], v[30:31], -v[18:19]
	v_add_f64_e64 v[28:29], v[32:33], -v[20:21]
	;; [unrolled: 1-line block ×6, first 2 shown]
	v_add_f64_e32 v[14:15], v[22:23], v[14:15]
	v_add_f64_e32 v[16:17], v[24:25], v[16:17]
	v_add_f64_e64 v[22:23], v[10:11], -v[22:23]
	v_add_f64_e64 v[24:25], v[12:13], -v[24:25]
	;; [unrolled: 1-line block ×4, first 2 shown]
	v_add_f64_e32 v[46:47], v[18:19], v[6:7]
	v_add_f64_e32 v[48:49], v[20:21], v[8:9]
	v_add_f64_e64 v[18:19], v[18:19], -v[34:35]
	v_add_f64_e64 v[20:21], v[20:21], -v[36:37]
	ds_load_b128 v[6:9], v1
	v_mul_f64_e32 v[26:27], s[30:31], v[26:27]
	v_mul_f64_e32 v[28:29], s[30:31], v[28:29]
	;; [unrolled: 1-line block ×6, first 2 shown]
	v_add_f64_e32 v[10:11], v[14:15], v[10:11]
	v_add_f64_e32 v[12:13], v[16:17], v[12:13]
	global_wb scope:SCOPE_SE
	s_wait_dscnt 0x0
	s_barrier_signal -1
	s_barrier_wait -1
	global_inv scope:SCOPE_SE
	v_add_f64_e32 v[6:7], v[6:7], v[46:47]
	v_add_f64_e32 v[8:9], v[8:9], v[48:49]
	v_mul_f64_e32 v[34:35], s[10:11], v[18:19]
	v_mul_f64_e32 v[36:37], s[10:11], v[20:21]
	v_fma_f64 v[14:15], v[18:19], s[10:11], v[26:27]
	v_fma_f64 v[16:17], v[20:21], s[10:11], v[28:29]
	v_fma_f64 v[18:19], v[22:23], s[26:27], v[38:39]
	v_fma_f64 v[20:21], v[24:25], s[26:27], v[40:41]
	v_fma_f64 v[38:39], v[42:43], s[8:9], -v[38:39]
	v_fma_f64 v[40:41], v[44:45], s[8:9], -v[40:41]
	;; [unrolled: 1-line block ×6, first 2 shown]
	v_fma_f64 v[42:43], v[46:47], s[12:13], v[6:7]
	v_fma_f64 v[44:45], v[48:49], s[12:13], v[8:9]
	v_fma_f64 v[30:31], v[30:31], s[16:17], -v[34:35]
	v_fma_f64 v[32:33], v[32:33], s[16:17], -v[36:37]
	s_wait_alu 0xfffe
	v_fma_f64 v[34:35], v[10:11], s[18:19], v[18:19]
	v_fma_f64 v[36:37], v[12:13], s[18:19], v[20:21]
	;; [unrolled: 1-line block ×6, first 2 shown]
	v_add_f64_e32 v[50:51], v[14:15], v[42:43]
	v_add_f64_e32 v[52:53], v[16:17], v[44:45]
	;; [unrolled: 1-line block ×6, first 2 shown]
	v_mul_lo_u16 v42, v4, 37
	s_delay_alu instid0(VALU_DEP_1)
	v_lshrrev_b16 v66, 8, v42
	v_add_f64_e32 v[10:11], v[50:51], v[36:37]
	v_add_f64_e64 v[12:13], v[52:53], -v[34:35]
	v_add_f64_e32 v[14:15], v[26:27], v[48:49]
	v_add_f64_e64 v[16:17], v[28:29], -v[46:47]
	v_add_f64_e64 v[18:19], v[22:23], -v[40:41]
	v_add_f64_e32 v[20:21], v[38:39], v[24:25]
	v_add_f64_e32 v[22:23], v[22:23], v[40:41]
	v_add_f64_e64 v[24:25], v[24:25], -v[38:39]
	v_add_f64_e64 v[26:27], v[26:27], -v[48:49]
	v_add_f64_e32 v[28:29], v[46:47], v[28:29]
	v_add_f64_e64 v[30:31], v[50:51], -v[36:37]
	v_add_f64_e32 v[32:33], v[34:35], v[52:53]
	v_mul_lo_u16 v34, v66, 7
	v_mad_u32_u24 v35, 0x1e0, v4, v1
	ds_store_b128 v35, v[6:9]
	ds_store_b128 v35, v[10:13] offset:80
	ds_store_b128 v35, v[14:17] offset:160
	ds_store_b128 v35, v[18:21] offset:240
	ds_store_b128 v35, v[22:25] offset:320
	ds_store_b128 v35, v[26:29] offset:400
	ds_store_b128 v35, v[30:33] offset:480
	v_sub_nc_u16 v34, v4, v34
	global_wb scope:SCOPE_SE
	s_wait_dscnt 0x0
	s_barrier_signal -1
	s_barrier_wait -1
	global_inv scope:SCOPE_SE
	v_and_b32_e32 v67, 0xff, v34
	s_delay_alu instid0(VALU_DEP_1) | instskip(NEXT) | instid1(VALU_DEP_1)
	v_mul_u32_u24_e32 v34, 6, v67
	v_lshlrev_b32_e32 v34, 4, v34
	s_clause 0x5
	global_load_b128 v[6:9], v34, s[4:5]
	global_load_b128 v[10:13], v34, s[4:5] offset:16
	global_load_b128 v[14:17], v34, s[4:5] offset:80
	;; [unrolled: 1-line block ×5, first 2 shown]
	ds_load_b128 v[30:33], v1 offset:3920
	ds_load_b128 v[34:37], v1 offset:7840
	;; [unrolled: 1-line block ×6, first 2 shown]
	s_wait_loadcnt_dscnt 0x505
	v_mul_f64_e32 v[54:55], v[32:33], v[8:9]
	v_mul_f64_e32 v[8:9], v[30:31], v[8:9]
	s_wait_loadcnt_dscnt 0x404
	v_mul_f64_e32 v[56:57], v[36:37], v[12:13]
	v_mul_f64_e32 v[12:13], v[34:35], v[12:13]
	;; [unrolled: 3-line block ×6, first 2 shown]
	v_fma_f64 v[30:31], v[30:31], v[6:7], -v[54:55]
	v_fma_f64 v[6:7], v[32:33], v[6:7], v[8:9]
	v_fma_f64 v[8:9], v[34:35], v[10:11], -v[56:57]
	v_fma_f64 v[10:11], v[36:37], v[10:11], v[12:13]
	;; [unrolled: 2-line block ×6, first 2 shown]
	v_add_f64_e32 v[28:29], v[30:31], v[12:13]
	v_add_f64_e32 v[32:33], v[6:7], v[14:15]
	v_add_f64_e32 v[34:35], v[8:9], v[16:17]
	v_add_f64_e32 v[36:37], v[10:11], v[18:19]
	v_add_f64_e64 v[16:17], v[8:9], -v[16:17]
	v_add_f64_e64 v[10:11], v[10:11], -v[18:19]
	v_add_f64_e32 v[8:9], v[20:21], v[24:25]
	v_add_f64_e32 v[18:19], v[22:23], v[26:27]
	v_add_f64_e64 v[20:21], v[24:25], -v[20:21]
	v_add_f64_e64 v[22:23], v[26:27], -v[22:23]
	;; [unrolled: 1-line block ×4, first 2 shown]
	v_add_f64_e32 v[6:7], v[34:35], v[28:29]
	v_add_f64_e32 v[24:25], v[36:37], v[32:33]
	v_add_f64_e64 v[26:27], v[28:29], -v[8:9]
	v_add_f64_e64 v[30:31], v[32:33], -v[18:19]
	;; [unrolled: 1-line block ×7, first 2 shown]
	v_add_f64_e32 v[16:17], v[20:21], v[16:17]
	v_add_f64_e32 v[10:11], v[22:23], v[10:11]
	v_add_f64_e64 v[20:21], v[12:13], -v[20:21]
	v_add_f64_e64 v[22:23], v[14:15], -v[22:23]
	v_add_f64_e64 v[28:29], v[34:35], -v[28:29]
	v_add_f64_e64 v[32:33], v[36:37], -v[32:33]
	v_add_f64_e32 v[46:47], v[8:9], v[6:7]
	v_add_f64_e32 v[24:25], v[18:19], v[24:25]
	v_add_f64_e64 v[18:19], v[18:19], -v[36:37]
	ds_load_b128 v[6:9], v1
	v_mul_f64_e32 v[26:27], s[30:31], v[26:27]
	v_mul_f64_e32 v[30:31], s[30:31], v[30:31]
	;; [unrolled: 1-line block ×7, first 2 shown]
	v_add_f64_e32 v[12:13], v[16:17], v[12:13]
	v_add_f64_e32 v[10:11], v[10:11], v[14:15]
	global_wb scope:SCOPE_SE
	s_wait_dscnt 0x0
	s_barrier_signal -1
	s_barrier_wait -1
	global_inv scope:SCOPE_SE
	v_add_f64_e32 v[6:7], v[6:7], v[46:47]
	v_add_f64_e32 v[8:9], v[8:9], v[24:25]
	v_mul_f64_e32 v[36:37], s[10:11], v[18:19]
	v_fma_f64 v[14:15], v[48:49], s[10:11], v[26:27]
	v_fma_f64 v[16:17], v[18:19], s[10:11], v[30:31]
	;; [unrolled: 1-line block ×4, first 2 shown]
	v_fma_f64 v[38:39], v[42:43], s[8:9], -v[38:39]
	v_fma_f64 v[20:21], v[20:21], s[28:29], -v[50:51]
	;; [unrolled: 1-line block ×7, first 2 shown]
	v_fma_f64 v[42:43], v[46:47], s[12:13], v[6:7]
	v_fma_f64 v[24:25], v[24:25], s[12:13], v[8:9]
	v_fma_f64 v[32:33], v[32:33], s[16:17], -v[36:37]
	v_fma_f64 v[34:35], v[12:13], s[18:19], v[18:19]
	v_fma_f64 v[36:37], v[10:11], s[18:19], v[48:49]
	;; [unrolled: 1-line block ×6, first 2 shown]
	v_add_f64_e32 v[48:49], v[14:15], v[42:43]
	v_add_f64_e32 v[50:51], v[16:17], v[24:25]
	v_add_f64_e32 v[26:27], v[26:27], v[42:43]
	v_add_f64_e32 v[30:31], v[30:31], v[24:25]
	v_add_f64_e32 v[22:23], v[28:29], v[42:43]
	v_add_f64_e32 v[24:25], v[32:33], v[24:25]
	v_mul_lo_u16 v42, v4, 21
	v_add_f64_e32 v[10:11], v[36:37], v[48:49]
	v_add_f64_e64 v[12:13], v[50:51], -v[34:35]
	v_add_f64_e32 v[14:15], v[46:47], v[26:27]
	v_add_f64_e64 v[16:17], v[30:31], -v[44:45]
	v_add_f64_e64 v[18:19], v[22:23], -v[40:41]
	v_add_f64_e32 v[20:21], v[38:39], v[24:25]
	v_add_f64_e32 v[22:23], v[40:41], v[22:23]
	v_add_f64_e64 v[24:25], v[24:25], -v[38:39]
	v_add_f64_e64 v[26:27], v[26:27], -v[46:47]
	v_add_f64_e32 v[28:29], v[44:45], v[30:31]
	v_add_f64_e64 v[30:31], v[48:49], -v[36:37]
	v_add_f64_e32 v[32:33], v[34:35], v[50:51]
	v_lshrrev_b16 v34, 10, v42
	s_delay_alu instid0(VALU_DEP_1) | instskip(NEXT) | instid1(VALU_DEP_1)
	v_mul_lo_u16 v34, v34, 49
	v_sub_nc_u16 v4, v4, v34
	v_and_b32_e32 v34, 0xffff, v66
	s_delay_alu instid0(VALU_DEP_2) | instskip(NEXT) | instid1(VALU_DEP_2)
	v_and_b32_e32 v64, 0xff, v4
	v_mad_u32_u24 v4, v34, 49, v67
	s_delay_alu instid0(VALU_DEP_2) | instskip(NEXT) | instid1(VALU_DEP_2)
	v_mul_u32_u24_e32 v34, 6, v64
	v_mul_u32_u24_e32 v4, 0x50, v4
	v_add_nc_u32_e32 v0, v64, v0
	s_delay_alu instid0(VALU_DEP_3) | instskip(NEXT) | instid1(VALU_DEP_3)
	v_lshlrev_b32_e32 v34, 4, v34
	v_add3_u32 v4, 0, v4, v5
	ds_store_b128 v4, v[6:9]
	ds_store_b128 v4, v[10:13] offset:560
	ds_store_b128 v4, v[14:17] offset:1120
	;; [unrolled: 1-line block ×6, first 2 shown]
	global_wb scope:SCOPE_SE
	s_wait_dscnt 0x0
	s_barrier_signal -1
	s_barrier_wait -1
	global_inv scope:SCOPE_SE
	s_clause 0x5
	global_load_b128 v[4:7], v34, s[4:5] offset:672
	global_load_b128 v[8:11], v34, s[4:5] offset:688
	;; [unrolled: 1-line block ×6, first 2 shown]
	ds_load_b128 v[28:31], v1 offset:3920
	ds_load_b128 v[32:35], v1 offset:7840
	;; [unrolled: 1-line block ×6, first 2 shown]
	s_mul_i32 s4, s3, 49
	s_wait_loadcnt_dscnt 0x505
	v_mul_f64_e32 v[52:53], v[30:31], v[6:7]
	v_mul_f64_e32 v[6:7], v[28:29], v[6:7]
	s_wait_loadcnt_dscnt 0x404
	v_mul_f64_e32 v[54:55], v[34:35], v[10:11]
	v_mul_f64_e32 v[10:11], v[32:33], v[10:11]
	;; [unrolled: 3-line block ×6, first 2 shown]
	v_fma_f64 v[28:29], v[28:29], v[4:5], -v[52:53]
	v_fma_f64 v[4:5], v[30:31], v[4:5], v[6:7]
	v_fma_f64 v[6:7], v[32:33], v[8:9], -v[54:55]
	v_fma_f64 v[8:9], v[34:35], v[8:9], v[10:11]
	;; [unrolled: 2-line block ×6, first 2 shown]
	v_add_f64_e32 v[26:27], v[28:29], v[10:11]
	v_add_f64_e32 v[30:31], v[4:5], v[12:13]
	v_add_f64_e32 v[32:33], v[6:7], v[14:15]
	v_add_f64_e32 v[34:35], v[8:9], v[16:17]
	v_add_f64_e64 v[14:15], v[6:7], -v[14:15]
	v_add_f64_e64 v[8:9], v[8:9], -v[16:17]
	v_add_f64_e32 v[6:7], v[18:19], v[22:23]
	v_add_f64_e32 v[16:17], v[20:21], v[24:25]
	v_add_f64_e64 v[18:19], v[22:23], -v[18:19]
	v_add_f64_e64 v[20:21], v[24:25], -v[20:21]
	;; [unrolled: 1-line block ×4, first 2 shown]
	v_add_f64_e32 v[4:5], v[32:33], v[26:27]
	v_add_f64_e32 v[22:23], v[34:35], v[30:31]
	v_add_f64_e64 v[24:25], v[26:27], -v[6:7]
	v_add_f64_e64 v[28:29], v[30:31], -v[16:17]
	;; [unrolled: 1-line block ×7, first 2 shown]
	v_add_f64_e32 v[14:15], v[18:19], v[14:15]
	v_add_f64_e32 v[8:9], v[20:21], v[8:9]
	v_add_f64_e64 v[18:19], v[10:11], -v[18:19]
	v_add_f64_e64 v[20:21], v[12:13], -v[20:21]
	v_add_f64_e64 v[26:27], v[32:33], -v[26:27]
	v_add_f64_e64 v[30:31], v[34:35], -v[30:31]
	v_add_f64_e32 v[44:45], v[6:7], v[4:5]
	v_add_f64_e32 v[22:23], v[16:17], v[22:23]
	v_add_f64_e64 v[16:17], v[16:17], -v[34:35]
	ds_load_b128 v[4:7], v1
	v_mul_f64_e32 v[24:25], s[30:31], v[24:25]
	v_mul_f64_e32 v[28:29], s[30:31], v[28:29]
	;; [unrolled: 1-line block ×7, first 2 shown]
	v_add_f64_e32 v[10:11], v[14:15], v[10:11]
	v_add_f64_e32 v[8:9], v[8:9], v[12:13]
	v_mul_lo_u32 v1, v0, s3
	v_add_co_u32 v0, s3, s36, v3
	s_wait_alu 0xf1ff
	v_add_co_ci_u32_e64 v3, null, 0, 0, s3
	s_lshl_b64 s[2:3], s[20:21], 4
	s_delay_alu instid0(VALU_DEP_1)
	v_mul_lo_u32 v3, v3, s0
	s_wait_dscnt 0x0
	v_add_f64_e32 v[4:5], v[4:5], v[44:45]
	v_add_f64_e32 v[6:7], v[6:7], v[22:23]
	v_mul_f64_e32 v[34:35], s[10:11], v[16:17]
	v_fma_f64 v[12:13], v[46:47], s[10:11], v[24:25]
	v_fma_f64 v[14:15], v[16:17], s[10:11], v[28:29]
	;; [unrolled: 1-line block ×4, first 2 shown]
	v_fma_f64 v[36:37], v[40:41], s[8:9], -v[36:37]
	v_fma_f64 v[18:19], v[18:19], s[28:29], -v[48:49]
	;; [unrolled: 1-line block ×7, first 2 shown]
	v_lshlrev_b64_e32 v[32:33], 4, v[1:2]
	v_add_nc_u32_e32 v1, s4, v1
	v_fma_f64 v[40:41], v[44:45], s[12:13], v[4:5]
	v_fma_f64 v[22:23], v[22:23], s[12:13], v[6:7]
	v_fma_f64 v[30:31], v[30:31], s[16:17], -v[34:35]
	s_delay_alu instid0(VALU_DEP_4)
	v_lshlrev_b64_e32 v[34:35], 4, v[1:2]
	v_add_nc_u32_e32 v1, s4, v1
	v_fma_f64 v[44:45], v[10:11], s[18:19], v[16:17]
	v_fma_f64 v[46:47], v[8:9], s[18:19], v[46:47]
	v_fma_f64 v[36:37], v[10:11], s[18:19], v[36:37]
	v_fma_f64 v[48:49], v[10:11], s[18:19], v[18:19]
	v_fma_f64 v[50:51], v[8:9], s[18:19], v[20:21]
	v_mul_lo_u32 v10, v0, s1
	v_lshlrev_b64_e32 v[42:43], 4, v[1:2]
	v_fma_f64 v[38:39], v[8:9], s[18:19], v[38:39]
	v_mad_co_u64_u32 v[8:9], null, v0, s0, 0
	v_add_nc_u32_e32 v1, s4, v1
	s_mul_u64 s[0:1], s[6:7], s[22:23]
	s_wait_alu 0xfffe
	s_lshl_b64 s[0:1], s[0:1], 4
	s_wait_alu 0xfffe
	s_add_nc_u64 s[0:1], s[14:15], s[0:1]
	s_delay_alu instid0(VALU_DEP_2) | instskip(SKIP_2) | instid1(VALU_DEP_1)
	v_add3_u32 v9, v9, v10, v3
	s_wait_alu 0xfffe
	s_add_nc_u64 s[0:1], s[0:1], s[2:3]
	v_lshlrev_b64_e32 v[60:61], 4, v[8:9]
	v_add_f64_e32 v[52:53], v[12:13], v[40:41]
	v_add_f64_e32 v[54:55], v[14:15], v[22:23]
	v_add_f64_e32 v[24:25], v[24:25], v[40:41]
	v_add_f64_e32 v[28:29], v[28:29], v[22:23]
	v_add_f64_e32 v[20:21], v[26:27], v[40:41]
	v_add_f64_e32 v[22:23], v[30:31], v[22:23]
	v_lshlrev_b64_e32 v[40:41], 4, v[1:2]
	v_add_nc_u32_e32 v1, s4, v1
	s_delay_alu instid0(VALU_DEP_1) | instskip(SKIP_1) | instid1(VALU_DEP_1)
	v_lshlrev_b64_e32 v[56:57], 4, v[1:2]
	v_add_nc_u32_e32 v1, s4, v1
	v_lshlrev_b64_e32 v[58:59], 4, v[1:2]
	v_add_nc_u32_e32 v1, s4, v1
	s_delay_alu instid0(VALU_DEP_1)
	v_lshlrev_b64_e32 v[0:1], 4, v[1:2]
	v_add_f64_e32 v[8:9], v[46:47], v[52:53]
	v_add_f64_e64 v[10:11], v[54:55], -v[44:45]
	v_add_f64_e32 v[12:13], v[50:51], v[24:25]
	v_add_f64_e64 v[14:15], v[28:29], -v[48:49]
	v_add_f64_e64 v[16:17], v[20:21], -v[38:39]
	v_add_f64_e32 v[18:19], v[36:37], v[22:23]
	v_add_f64_e32 v[20:21], v[38:39], v[20:21]
	v_add_f64_e64 v[22:23], v[22:23], -v[36:37]
	v_add_f64_e64 v[24:25], v[24:25], -v[50:51]
	v_add_f64_e32 v[26:27], v[48:49], v[28:29]
	v_add_f64_e64 v[28:29], v[52:53], -v[46:47]
	v_add_f64_e32 v[30:31], v[44:45], v[54:55]
	s_wait_alu 0xfffe
	v_add_co_u32 v44, vcc_lo, s0, v60
	s_wait_alu 0xfffd
	v_add_co_ci_u32_e32 v45, vcc_lo, s1, v61, vcc_lo
	s_delay_alu instid0(VALU_DEP_2) | instskip(SKIP_1) | instid1(VALU_DEP_2)
	v_add_co_u32 v2, vcc_lo, v44, v32
	s_wait_alu 0xfffd
	v_add_co_ci_u32_e32 v3, vcc_lo, v45, v33, vcc_lo
	v_add_co_u32 v32, vcc_lo, v44, v34
	s_wait_alu 0xfffd
	v_add_co_ci_u32_e32 v33, vcc_lo, v45, v35, vcc_lo
	;; [unrolled: 3-line block ×7, first 2 shown]
	s_clause 0x6
	global_store_b128 v[2:3], v[4:7], off
	global_store_b128 v[32:33], v[8:11], off
	;; [unrolled: 1-line block ×7, first 2 shown]
	s_nop 0
	s_sendmsg sendmsg(MSG_DEALLOC_VGPRS)
	s_endpgm
	.section	.rodata,"a",@progbits
	.p2align	6, 0x0
	.amdhsa_kernel fft_rtc_fwd_len343_factors_7_7_7_wgs_245_tpt_49_dp_op_CI_CI_sbrc_z_xy_diag_dirReg
		.amdhsa_group_segment_fixed_size 0
		.amdhsa_private_segment_fixed_size 0
		.amdhsa_kernarg_size 104
		.amdhsa_user_sgpr_count 2
		.amdhsa_user_sgpr_dispatch_ptr 0
		.amdhsa_user_sgpr_queue_ptr 0
		.amdhsa_user_sgpr_kernarg_segment_ptr 1
		.amdhsa_user_sgpr_dispatch_id 0
		.amdhsa_user_sgpr_private_segment_size 0
		.amdhsa_wavefront_size32 1
		.amdhsa_uses_dynamic_stack 0
		.amdhsa_enable_private_segment 0
		.amdhsa_system_sgpr_workgroup_id_x 1
		.amdhsa_system_sgpr_workgroup_id_y 0
		.amdhsa_system_sgpr_workgroup_id_z 0
		.amdhsa_system_sgpr_workgroup_info 0
		.amdhsa_system_vgpr_workitem_id 0
		.amdhsa_next_free_vgpr 68
		.amdhsa_next_free_sgpr 37
		.amdhsa_reserve_vcc 1
		.amdhsa_float_round_mode_32 0
		.amdhsa_float_round_mode_16_64 0
		.amdhsa_float_denorm_mode_32 3
		.amdhsa_float_denorm_mode_16_64 3
		.amdhsa_fp16_overflow 0
		.amdhsa_workgroup_processor_mode 1
		.amdhsa_memory_ordered 1
		.amdhsa_forward_progress 0
		.amdhsa_round_robin_scheduling 0
		.amdhsa_exception_fp_ieee_invalid_op 0
		.amdhsa_exception_fp_denorm_src 0
		.amdhsa_exception_fp_ieee_div_zero 0
		.amdhsa_exception_fp_ieee_overflow 0
		.amdhsa_exception_fp_ieee_underflow 0
		.amdhsa_exception_fp_ieee_inexact 0
		.amdhsa_exception_int_div_zero 0
	.end_amdhsa_kernel
	.text
.Lfunc_end0:
	.size	fft_rtc_fwd_len343_factors_7_7_7_wgs_245_tpt_49_dp_op_CI_CI_sbrc_z_xy_diag_dirReg, .Lfunc_end0-fft_rtc_fwd_len343_factors_7_7_7_wgs_245_tpt_49_dp_op_CI_CI_sbrc_z_xy_diag_dirReg
                                        ; -- End function
	.section	.AMDGPU.csdata,"",@progbits
; Kernel info:
; codeLenInByte = 4876
; NumSgprs: 39
; NumVgprs: 68
; ScratchSize: 0
; MemoryBound: 0
; FloatMode: 240
; IeeeMode: 1
; LDSByteSize: 0 bytes/workgroup (compile time only)
; SGPRBlocks: 4
; VGPRBlocks: 8
; NumSGPRsForWavesPerEU: 39
; NumVGPRsForWavesPerEU: 68
; Occupancy: 16
; WaveLimiterHint : 1
; COMPUTE_PGM_RSRC2:SCRATCH_EN: 0
; COMPUTE_PGM_RSRC2:USER_SGPR: 2
; COMPUTE_PGM_RSRC2:TRAP_HANDLER: 0
; COMPUTE_PGM_RSRC2:TGID_X_EN: 1
; COMPUTE_PGM_RSRC2:TGID_Y_EN: 0
; COMPUTE_PGM_RSRC2:TGID_Z_EN: 0
; COMPUTE_PGM_RSRC2:TIDIG_COMP_CNT: 0
	.text
	.p2alignl 7, 3214868480
	.fill 96, 4, 3214868480
	.type	__hip_cuid_b39840cdb5d3d10a,@object ; @__hip_cuid_b39840cdb5d3d10a
	.section	.bss,"aw",@nobits
	.globl	__hip_cuid_b39840cdb5d3d10a
__hip_cuid_b39840cdb5d3d10a:
	.byte	0                               ; 0x0
	.size	__hip_cuid_b39840cdb5d3d10a, 1

	.ident	"AMD clang version 19.0.0git (https://github.com/RadeonOpenCompute/llvm-project roc-6.4.0 25133 c7fe45cf4b819c5991fe208aaa96edf142730f1d)"
	.section	".note.GNU-stack","",@progbits
	.addrsig
	.addrsig_sym __hip_cuid_b39840cdb5d3d10a
	.amdgpu_metadata
---
amdhsa.kernels:
  - .args:
      - .actual_access:  read_only
        .address_space:  global
        .offset:         0
        .size:           8
        .value_kind:     global_buffer
      - .offset:         8
        .size:           8
        .value_kind:     by_value
      - .actual_access:  read_only
        .address_space:  global
        .offset:         16
        .size:           8
        .value_kind:     global_buffer
      - .actual_access:  read_only
        .address_space:  global
        .offset:         24
        .size:           8
        .value_kind:     global_buffer
      - .actual_access:  read_only
        .address_space:  global
        .offset:         32
        .size:           8
        .value_kind:     global_buffer
      - .offset:         40
        .size:           8
        .value_kind:     by_value
      - .actual_access:  read_only
        .address_space:  global
        .offset:         48
        .size:           8
        .value_kind:     global_buffer
      - .actual_access:  read_only
        .address_space:  global
        .offset:         56
        .size:           8
        .value_kind:     global_buffer
      - .offset:         64
        .size:           4
        .value_kind:     by_value
      - .actual_access:  read_only
        .address_space:  global
        .offset:         72
        .size:           8
        .value_kind:     global_buffer
      - .actual_access:  read_only
        .address_space:  global
        .offset:         80
        .size:           8
        .value_kind:     global_buffer
      - .actual_access:  read_only
        .address_space:  global
        .offset:         88
        .size:           8
        .value_kind:     global_buffer
      - .actual_access:  write_only
        .address_space:  global
        .offset:         96
        .size:           8
        .value_kind:     global_buffer
    .group_segment_fixed_size: 0
    .kernarg_segment_align: 8
    .kernarg_segment_size: 104
    .language:       OpenCL C
    .language_version:
      - 2
      - 0
    .max_flat_workgroup_size: 245
    .name:           fft_rtc_fwd_len343_factors_7_7_7_wgs_245_tpt_49_dp_op_CI_CI_sbrc_z_xy_diag_dirReg
    .private_segment_fixed_size: 0
    .sgpr_count:     39
    .sgpr_spill_count: 0
    .symbol:         fft_rtc_fwd_len343_factors_7_7_7_wgs_245_tpt_49_dp_op_CI_CI_sbrc_z_xy_diag_dirReg.kd
    .uniform_work_group_size: 1
    .uses_dynamic_stack: false
    .vgpr_count:     68
    .vgpr_spill_count: 0
    .wavefront_size: 32
    .workgroup_processor_mode: 1
amdhsa.target:   amdgcn-amd-amdhsa--gfx1201
amdhsa.version:
  - 1
  - 2
...

	.end_amdgpu_metadata
